;; amdgpu-corpus repo=ROCm/rocFFT kind=compiled arch=gfx1030 opt=O3
	.text
	.amdgcn_target "amdgcn-amd-amdhsa--gfx1030"
	.amdhsa_code_object_version 6
	.protected	fft_rtc_fwd_len882_factors_9_7_7_2_wgs_63_tpt_63_dp_op_CI_CI_unitstride_sbrr_C2R_dirReg ; -- Begin function fft_rtc_fwd_len882_factors_9_7_7_2_wgs_63_tpt_63_dp_op_CI_CI_unitstride_sbrr_C2R_dirReg
	.globl	fft_rtc_fwd_len882_factors_9_7_7_2_wgs_63_tpt_63_dp_op_CI_CI_unitstride_sbrr_C2R_dirReg
	.p2align	8
	.type	fft_rtc_fwd_len882_factors_9_7_7_2_wgs_63_tpt_63_dp_op_CI_CI_unitstride_sbrr_C2R_dirReg,@function
fft_rtc_fwd_len882_factors_9_7_7_2_wgs_63_tpt_63_dp_op_CI_CI_unitstride_sbrr_C2R_dirReg: ; @fft_rtc_fwd_len882_factors_9_7_7_2_wgs_63_tpt_63_dp_op_CI_CI_unitstride_sbrr_C2R_dirReg
; %bb.0:
	s_clause 0x2
	s_load_dwordx4 s[12:15], s[4:5], 0x0
	s_load_dwordx4 s[8:11], s[4:5], 0x58
	;; [unrolled: 1-line block ×3, first 2 shown]
	v_mul_u32_u24_e32 v1, 0x411, v0
	v_mov_b32_e32 v3, 0
	v_add_nc_u32_sdwa v5, s6, v1 dst_sel:DWORD dst_unused:UNUSED_PAD src0_sel:DWORD src1_sel:WORD_1
	v_mov_b32_e32 v1, 0
	v_mov_b32_e32 v6, v3
	v_mov_b32_e32 v2, 0
	s_waitcnt lgkmcnt(0)
	v_cmp_lt_u64_e64 s0, s[14:15], 2
	s_and_b32 vcc_lo, exec_lo, s0
	s_cbranch_vccnz .LBB0_8
; %bb.1:
	s_load_dwordx2 s[0:1], s[4:5], 0x10
	v_mov_b32_e32 v1, 0
	v_mov_b32_e32 v2, 0
	s_add_u32 s2, s18, 8
	s_addc_u32 s3, s19, 0
	s_add_u32 s6, s16, 8
	s_addc_u32 s7, s17, 0
	v_mov_b32_e32 v57, v2
	v_mov_b32_e32 v56, v1
	s_mov_b64 s[22:23], 1
	s_waitcnt lgkmcnt(0)
	s_add_u32 s20, s0, 8
	s_addc_u32 s21, s1, 0
.LBB0_2:                                ; =>This Inner Loop Header: Depth=1
	s_load_dwordx2 s[24:25], s[20:21], 0x0
                                        ; implicit-def: $vgpr60_vgpr61
	s_mov_b32 s0, exec_lo
	s_waitcnt lgkmcnt(0)
	v_or_b32_e32 v4, s25, v6
	v_cmpx_ne_u64_e32 0, v[3:4]
	s_xor_b32 s1, exec_lo, s0
	s_cbranch_execz .LBB0_4
; %bb.3:                                ;   in Loop: Header=BB0_2 Depth=1
	v_cvt_f32_u32_e32 v4, s24
	v_cvt_f32_u32_e32 v7, s25
	s_sub_u32 s0, 0, s24
	s_subb_u32 s26, 0, s25
	v_fmac_f32_e32 v4, 0x4f800000, v7
	v_rcp_f32_e32 v4, v4
	v_mul_f32_e32 v4, 0x5f7ffffc, v4
	v_mul_f32_e32 v7, 0x2f800000, v4
	v_trunc_f32_e32 v7, v7
	v_fmac_f32_e32 v4, 0xcf800000, v7
	v_cvt_u32_f32_e32 v7, v7
	v_cvt_u32_f32_e32 v4, v4
	v_mul_lo_u32 v8, s0, v7
	v_mul_hi_u32 v9, s0, v4
	v_mul_lo_u32 v10, s26, v4
	v_add_nc_u32_e32 v8, v9, v8
	v_mul_lo_u32 v9, s0, v4
	v_add_nc_u32_e32 v8, v8, v10
	v_mul_hi_u32 v10, v4, v9
	v_mul_lo_u32 v11, v4, v8
	v_mul_hi_u32 v12, v4, v8
	v_mul_hi_u32 v13, v7, v9
	v_mul_lo_u32 v9, v7, v9
	v_mul_hi_u32 v14, v7, v8
	v_mul_lo_u32 v8, v7, v8
	v_add_co_u32 v10, vcc_lo, v10, v11
	v_add_co_ci_u32_e32 v11, vcc_lo, 0, v12, vcc_lo
	v_add_co_u32 v9, vcc_lo, v10, v9
	v_add_co_ci_u32_e32 v9, vcc_lo, v11, v13, vcc_lo
	v_add_co_ci_u32_e32 v10, vcc_lo, 0, v14, vcc_lo
	v_add_co_u32 v8, vcc_lo, v9, v8
	v_add_co_ci_u32_e32 v9, vcc_lo, 0, v10, vcc_lo
	v_add_co_u32 v4, vcc_lo, v4, v8
	v_add_co_ci_u32_e32 v7, vcc_lo, v7, v9, vcc_lo
	v_mul_hi_u32 v8, s0, v4
	v_mul_lo_u32 v10, s26, v4
	v_mul_lo_u32 v9, s0, v7
	v_add_nc_u32_e32 v8, v8, v9
	v_mul_lo_u32 v9, s0, v4
	v_add_nc_u32_e32 v8, v8, v10
	v_mul_hi_u32 v10, v4, v9
	v_mul_lo_u32 v11, v4, v8
	v_mul_hi_u32 v12, v4, v8
	v_mul_hi_u32 v13, v7, v9
	v_mul_lo_u32 v9, v7, v9
	v_mul_hi_u32 v14, v7, v8
	v_mul_lo_u32 v8, v7, v8
	v_add_co_u32 v10, vcc_lo, v10, v11
	v_add_co_ci_u32_e32 v11, vcc_lo, 0, v12, vcc_lo
	v_add_co_u32 v9, vcc_lo, v10, v9
	v_add_co_ci_u32_e32 v9, vcc_lo, v11, v13, vcc_lo
	v_add_co_ci_u32_e32 v10, vcc_lo, 0, v14, vcc_lo
	v_add_co_u32 v8, vcc_lo, v9, v8
	v_add_co_ci_u32_e32 v9, vcc_lo, 0, v10, vcc_lo
	v_add_co_u32 v4, vcc_lo, v4, v8
	v_add_co_ci_u32_e32 v11, vcc_lo, v7, v9, vcc_lo
	v_mul_hi_u32 v13, v5, v4
	v_mad_u64_u32 v[9:10], null, v6, v4, 0
	v_mad_u64_u32 v[7:8], null, v5, v11, 0
	;; [unrolled: 1-line block ×3, first 2 shown]
	v_add_co_u32 v4, vcc_lo, v13, v7
	v_add_co_ci_u32_e32 v7, vcc_lo, 0, v8, vcc_lo
	v_add_co_u32 v4, vcc_lo, v4, v9
	v_add_co_ci_u32_e32 v4, vcc_lo, v7, v10, vcc_lo
	v_add_co_ci_u32_e32 v7, vcc_lo, 0, v12, vcc_lo
	v_add_co_u32 v4, vcc_lo, v4, v11
	v_add_co_ci_u32_e32 v9, vcc_lo, 0, v7, vcc_lo
	v_mul_lo_u32 v10, s25, v4
	v_mad_u64_u32 v[7:8], null, s24, v4, 0
	v_mul_lo_u32 v11, s24, v9
	v_sub_co_u32 v7, vcc_lo, v5, v7
	v_add3_u32 v8, v8, v11, v10
	v_sub_nc_u32_e32 v10, v6, v8
	v_subrev_co_ci_u32_e64 v10, s0, s25, v10, vcc_lo
	v_add_co_u32 v11, s0, v4, 2
	v_add_co_ci_u32_e64 v12, s0, 0, v9, s0
	v_sub_co_u32 v13, s0, v7, s24
	v_sub_co_ci_u32_e32 v8, vcc_lo, v6, v8, vcc_lo
	v_subrev_co_ci_u32_e64 v10, s0, 0, v10, s0
	v_cmp_le_u32_e32 vcc_lo, s24, v13
	v_cmp_eq_u32_e64 s0, s25, v8
	v_cndmask_b32_e64 v13, 0, -1, vcc_lo
	v_cmp_le_u32_e32 vcc_lo, s25, v10
	v_cndmask_b32_e64 v14, 0, -1, vcc_lo
	v_cmp_le_u32_e32 vcc_lo, s24, v7
	;; [unrolled: 2-line block ×3, first 2 shown]
	v_cndmask_b32_e64 v15, 0, -1, vcc_lo
	v_cmp_eq_u32_e32 vcc_lo, s25, v10
	v_cndmask_b32_e64 v7, v15, v7, s0
	v_cndmask_b32_e32 v10, v14, v13, vcc_lo
	v_add_co_u32 v13, vcc_lo, v4, 1
	v_add_co_ci_u32_e32 v14, vcc_lo, 0, v9, vcc_lo
	v_cmp_ne_u32_e32 vcc_lo, 0, v10
	v_cndmask_b32_e32 v8, v14, v12, vcc_lo
	v_cndmask_b32_e32 v10, v13, v11, vcc_lo
	v_cmp_ne_u32_e32 vcc_lo, 0, v7
	v_cndmask_b32_e32 v61, v9, v8, vcc_lo
	v_cndmask_b32_e32 v60, v4, v10, vcc_lo
.LBB0_4:                                ;   in Loop: Header=BB0_2 Depth=1
	s_andn2_saveexec_b32 s0, s1
	s_cbranch_execz .LBB0_6
; %bb.5:                                ;   in Loop: Header=BB0_2 Depth=1
	v_cvt_f32_u32_e32 v4, s24
	s_sub_i32 s1, 0, s24
	v_mov_b32_e32 v61, v3
	v_rcp_iflag_f32_e32 v4, v4
	v_mul_f32_e32 v4, 0x4f7ffffe, v4
	v_cvt_u32_f32_e32 v4, v4
	v_mul_lo_u32 v7, s1, v4
	v_mul_hi_u32 v7, v4, v7
	v_add_nc_u32_e32 v4, v4, v7
	v_mul_hi_u32 v4, v5, v4
	v_mul_lo_u32 v7, v4, s24
	v_add_nc_u32_e32 v8, 1, v4
	v_sub_nc_u32_e32 v7, v5, v7
	v_subrev_nc_u32_e32 v9, s24, v7
	v_cmp_le_u32_e32 vcc_lo, s24, v7
	v_cndmask_b32_e32 v7, v7, v9, vcc_lo
	v_cndmask_b32_e32 v4, v4, v8, vcc_lo
	v_cmp_le_u32_e32 vcc_lo, s24, v7
	v_add_nc_u32_e32 v8, 1, v4
	v_cndmask_b32_e32 v60, v4, v8, vcc_lo
.LBB0_6:                                ;   in Loop: Header=BB0_2 Depth=1
	s_or_b32 exec_lo, exec_lo, s0
	v_mul_lo_u32 v4, v61, s24
	v_mul_lo_u32 v9, v60, s25
	s_load_dwordx2 s[0:1], s[6:7], 0x0
	v_mad_u64_u32 v[7:8], null, v60, s24, 0
	s_load_dwordx2 s[24:25], s[2:3], 0x0
	s_add_u32 s22, s22, 1
	s_addc_u32 s23, s23, 0
	s_add_u32 s2, s2, 8
	s_addc_u32 s3, s3, 0
	s_add_u32 s6, s6, 8
	v_add3_u32 v4, v8, v9, v4
	v_sub_co_u32 v5, vcc_lo, v5, v7
	s_addc_u32 s7, s7, 0
	s_add_u32 s20, s20, 8
	v_sub_co_ci_u32_e32 v4, vcc_lo, v6, v4, vcc_lo
	s_addc_u32 s21, s21, 0
	s_waitcnt lgkmcnt(0)
	v_mul_lo_u32 v6, s0, v4
	v_mul_lo_u32 v7, s1, v5
	v_mad_u64_u32 v[1:2], null, s0, v5, v[1:2]
	v_mul_lo_u32 v4, s24, v4
	v_mul_lo_u32 v8, s25, v5
	v_mad_u64_u32 v[56:57], null, s24, v5, v[56:57]
	v_cmp_ge_u64_e64 s0, s[22:23], s[14:15]
	v_add3_u32 v2, v7, v2, v6
	v_add3_u32 v57, v8, v57, v4
	s_and_b32 vcc_lo, exec_lo, s0
	s_cbranch_vccnz .LBB0_9
; %bb.7:                                ;   in Loop: Header=BB0_2 Depth=1
	v_mov_b32_e32 v5, v60
	v_mov_b32_e32 v6, v61
	s_branch .LBB0_2
.LBB0_8:
	v_mov_b32_e32 v57, v2
	v_mov_b32_e32 v61, v6
	;; [unrolled: 1-line block ×4, first 2 shown]
.LBB0_9:
	s_load_dwordx2 s[0:1], s[4:5], 0x28
	v_mul_hi_u32 v3, 0x4104105, v0
	s_lshl_b64 s[4:5], s[14:15], 3
                                        ; implicit-def: $vgpr58
                                        ; implicit-def: $vgpr4_vgpr5
	s_add_u32 s2, s18, s4
	s_addc_u32 s3, s19, s5
	s_waitcnt lgkmcnt(0)
	v_cmp_gt_u64_e32 vcc_lo, s[0:1], v[60:61]
	v_cmp_le_u64_e64 s0, s[0:1], v[60:61]
	s_and_saveexec_b32 s1, s0
	s_xor_b32 s0, exec_lo, s1
; %bb.10:
	v_mul_u32_u24_e32 v1, 63, v3
	v_mov_b32_e32 v59, 0
                                        ; implicit-def: $vgpr3
	v_sub_nc_u32_e32 v58, v0, v1
                                        ; implicit-def: $vgpr0
                                        ; implicit-def: $vgpr1_vgpr2
	v_mov_b32_e32 v4, v58
	v_mov_b32_e32 v5, v59
; %bb.11:
	s_or_saveexec_b32 s1, s0
	s_load_dwordx2 s[2:3], s[2:3], 0x0
	s_xor_b32 exec_lo, exec_lo, s1
	s_cbranch_execz .LBB0_15
; %bb.12:
	s_add_u32 s4, s16, s4
	s_addc_u32 s5, s17, s5
	v_lshlrev_b64 v[1:2], 4, v[1:2]
	s_load_dwordx2 s[4:5], s[4:5], 0x0
	v_mov_b32_e32 v59, 0
	s_waitcnt lgkmcnt(0)
	v_mul_lo_u32 v6, s5, v60
	v_mul_lo_u32 v7, s4, v61
	v_mad_u64_u32 v[4:5], null, s4, v60, 0
	s_mov_b32 s4, exec_lo
	v_add3_u32 v5, v5, v7, v6
	v_mul_u32_u24_e32 v6, 63, v3
	v_lshlrev_b64 v[3:4], 4, v[4:5]
	v_sub_nc_u32_e32 v58, v0, v6
	v_lshlrev_b32_e32 v70, 4, v58
	v_add_co_u32 v0, s0, s8, v3
	v_add_co_ci_u32_e64 v3, s0, s9, v4, s0
	v_add_co_u32 v0, s0, v0, v1
	v_add_co_ci_u32_e64 v1, s0, v3, v2, s0
	v_add_co_u32 v2, s0, v0, v70
	v_add_co_ci_u32_e64 v3, s0, 0, v1, s0
	s_clause 0x1
	global_load_dwordx4 v[6:9], v[2:3], off
	global_load_dwordx4 v[10:13], v[2:3], off offset:1008
	v_add_co_u32 v4, s0, 0x800, v2
	v_add_co_ci_u32_e64 v5, s0, 0, v3, s0
	v_add_co_u32 v30, s0, 0x1000, v2
	v_add_co_ci_u32_e64 v31, s0, 0, v3, s0
	;; [unrolled: 2-line block ×6, first 2 shown]
	s_clause 0xb
	global_load_dwordx4 v[14:17], v[2:3], off offset:2016
	global_load_dwordx4 v[18:21], v[4:5], off offset:976
	;; [unrolled: 1-line block ×12, first 2 shown]
	v_mov_b32_e32 v4, v58
	v_add_nc_u32_e32 v2, 0, v70
	v_mov_b32_e32 v5, v59
	s_waitcnt vmcnt(13)
	ds_write_b128 v2, v[6:9]
	s_waitcnt vmcnt(12)
	ds_write_b128 v2, v[10:13] offset:1008
	s_waitcnt vmcnt(11)
	ds_write_b128 v2, v[14:17] offset:2016
	;; [unrolled: 2-line block ×13, first 2 shown]
	v_cmpx_eq_u32_e32 62, v58
	s_cbranch_execz .LBB0_14
; %bb.13:
	v_add_co_u32 v0, s0, 0x3000, v0
	v_add_co_ci_u32_e64 v1, s0, 0, v1, s0
	v_mov_b32_e32 v4, 62
	v_mov_b32_e32 v5, 0
	;; [unrolled: 1-line block ×3, first 2 shown]
	global_load_dwordx4 v[0:3], v[0:1], off offset:1824
	s_waitcnt vmcnt(0)
	ds_write_b128 v59, v[0:3] offset:14112
.LBB0_14:
	s_or_b32 exec_lo, exec_lo, s4
.LBB0_15:
	s_or_b32 exec_lo, exec_lo, s1
	v_lshlrev_b32_e32 v0, 4, v58
	s_waitcnt lgkmcnt(0)
	s_barrier
	buffer_gl0_inv
	v_lshlrev_b64 v[62:63], 4, v[4:5]
	v_add_nc_u32_e32 v66, 0, v0
	v_sub_nc_u32_e32 v10, 0, v0
	s_add_u32 s1, s12, 0x3690
	s_addc_u32 s4, s13, 0
	s_mov_b32 s5, exec_lo
	ds_read_b64 v[6:7], v66
	ds_read_b64 v[8:9], v10 offset:14112
	s_waitcnt lgkmcnt(0)
	v_add_f64 v[0:1], v[6:7], v[8:9]
	v_add_f64 v[2:3], v[6:7], -v[8:9]
	v_cmpx_ne_u32_e32 0, v58
	s_xor_b32 s5, exec_lo, s5
	s_cbranch_execz .LBB0_17
; %bb.16:
	v_add_co_u32 v0, s0, s1, v62
	v_add_co_ci_u32_e64 v1, s0, s4, v63, s0
	v_add_f64 v[13:14], v[6:7], v[8:9]
	v_add_f64 v[8:9], v[6:7], -v[8:9]
	global_load_dwordx4 v[2:5], v[0:1], off
	ds_read_b64 v[0:1], v10 offset:14120
	ds_read_b64 v[11:12], v66 offset:8
	s_waitcnt lgkmcnt(0)
	v_add_f64 v[6:7], v[0:1], v[11:12]
	v_add_f64 v[0:1], v[11:12], -v[0:1]
	s_waitcnt vmcnt(0)
	v_fma_f64 v[11:12], v[8:9], v[4:5], v[13:14]
	v_fma_f64 v[13:14], -v[8:9], v[4:5], v[13:14]
	v_fma_f64 v[15:16], v[6:7], v[4:5], -v[0:1]
	v_fma_f64 v[17:18], v[6:7], v[4:5], v[0:1]
	v_fma_f64 v[0:1], -v[6:7], v[2:3], v[11:12]
	v_fma_f64 v[4:5], v[6:7], v[2:3], v[13:14]
	v_fma_f64 v[6:7], v[8:9], v[2:3], v[15:16]
	;; [unrolled: 1-line block ×3, first 2 shown]
	ds_write_b128 v10, v[4:7] offset:14112
.LBB0_17:
	s_andn2_saveexec_b32 s0, s5
	s_cbranch_execz .LBB0_19
; %bb.18:
	v_mov_b32_e32 v8, 0
	ds_read_b128 v[4:7], v8 offset:7056
	s_waitcnt lgkmcnt(0)
	v_add_f64 v[4:5], v[4:5], v[4:5]
	v_mul_f64 v[6:7], v[6:7], -2.0
	ds_write_b128 v8, v[4:7] offset:7056
.LBB0_19:
	s_or_b32 exec_lo, exec_lo, s0
	v_mov_b32_e32 v59, 0
	s_mov_b32 s16, 0x523c161c
	s_mov_b32 s8, 0x8c811c17
	;; [unrolled: 1-line block ×4, first 2 shown]
	v_lshlrev_b64 v[64:65], 4, v[58:59]
	s_mov_b32 s15, 0xbfe491b7
	s_mov_b32 s14, s16
	;; [unrolled: 1-line block ×5, first 2 shown]
	v_add_co_u32 v27, s0, s1, v64
	v_add_co_ci_u32_e64 v28, s0, s4, v65, s0
	s_mov_b32 s4, 0xe8584cab
	v_add_co_u32 v8, s0, 0x800, v27
	s_clause 0x1
	global_load_dwordx4 v[4:7], v[27:28], off offset:1008
	global_load_dwordx4 v[11:14], v[27:28], off offset:2016
	v_add_co_ci_u32_e64 v9, s0, 0, v28, s0
	ds_write_b128 v66, v[0:3]
	v_add_co_u32 v27, s0, 0x1000, v27
	global_load_dwordx4 v[15:18], v[8:9], off offset:976
	ds_read_b128 v[0:3], v66 offset:1008
	ds_read_b128 v[19:22], v10 offset:13104
	global_load_dwordx4 v[23:26], v[8:9], off offset:1984
	v_add_co_ci_u32_e64 v28, s0, 0, v28, s0
	s_mov_b32 s21, 0x3fc63a1a
	s_mov_b32 s5, 0x3febb67a
	;; [unrolled: 1-line block ×8, first 2 shown]
	s_mov_b32 s1, exec_lo
	s_waitcnt lgkmcnt(0)
	v_add_f64 v[8:9], v[0:1], v[19:20]
	v_add_f64 v[29:30], v[21:22], v[2:3]
	v_add_f64 v[19:20], v[0:1], -v[19:20]
	v_add_f64 v[0:1], v[2:3], -v[21:22]
	s_waitcnt vmcnt(3)
	v_fma_f64 v[2:3], v[19:20], v[6:7], v[8:9]
	v_fma_f64 v[21:22], v[29:30], v[6:7], v[0:1]
	v_fma_f64 v[8:9], -v[19:20], v[6:7], v[8:9]
	v_fma_f64 v[31:32], v[29:30], v[6:7], -v[0:1]
	v_fma_f64 v[0:1], -v[29:30], v[4:5], v[2:3]
	v_fma_f64 v[2:3], v[19:20], v[4:5], v[21:22]
	v_fma_f64 v[6:7], v[29:30], v[4:5], v[8:9]
	;; [unrolled: 1-line block ×3, first 2 shown]
	ds_write_b128 v66, v[0:3] offset:1008
	ds_write_b128 v10, v[6:9] offset:13104
	ds_read_b128 v[0:3], v66 offset:2016
	ds_read_b128 v[4:7], v10 offset:12096
	global_load_dwordx4 v[19:22], v[27:28], off offset:944
	s_waitcnt lgkmcnt(0)
	v_add_f64 v[8:9], v[0:1], v[4:5]
	v_add_f64 v[29:30], v[6:7], v[2:3]
	v_add_f64 v[31:32], v[0:1], -v[4:5]
	v_add_f64 v[0:1], v[2:3], -v[6:7]
	s_waitcnt vmcnt(3)
	v_fma_f64 v[2:3], v[31:32], v[13:14], v[8:9]
	v_fma_f64 v[4:5], v[29:30], v[13:14], v[0:1]
	v_fma_f64 v[6:7], -v[31:32], v[13:14], v[8:9]
	v_fma_f64 v[8:9], v[29:30], v[13:14], -v[0:1]
	v_fma_f64 v[0:1], -v[29:30], v[11:12], v[2:3]
	v_fma_f64 v[2:3], v[31:32], v[11:12], v[4:5]
	v_fma_f64 v[4:5], v[29:30], v[11:12], v[6:7]
	;; [unrolled: 1-line block ×3, first 2 shown]
	ds_write_b128 v66, v[0:3] offset:2016
	ds_write_b128 v10, v[4:7] offset:12096
	ds_read_b128 v[0:3], v66 offset:3024
	ds_read_b128 v[4:7], v10 offset:11088
	global_load_dwordx4 v[11:14], v[27:28], off offset:1952
	s_waitcnt lgkmcnt(0)
	v_add_f64 v[8:9], v[0:1], v[4:5]
	v_add_f64 v[27:28], v[6:7], v[2:3]
	v_add_f64 v[29:30], v[0:1], -v[4:5]
	v_add_f64 v[0:1], v[2:3], -v[6:7]
	s_waitcnt vmcnt(3)
	v_fma_f64 v[2:3], v[29:30], v[17:18], v[8:9]
	v_fma_f64 v[4:5], v[27:28], v[17:18], v[0:1]
	v_fma_f64 v[6:7], -v[29:30], v[17:18], v[8:9]
	v_fma_f64 v[8:9], v[27:28], v[17:18], -v[0:1]
	v_fma_f64 v[0:1], -v[27:28], v[15:16], v[2:3]
	v_fma_f64 v[2:3], v[29:30], v[15:16], v[4:5]
	v_fma_f64 v[4:5], v[27:28], v[15:16], v[6:7]
	v_fma_f64 v[6:7], v[29:30], v[15:16], v[8:9]
	ds_write_b128 v66, v[0:3] offset:3024
	ds_write_b128 v10, v[4:7] offset:11088
	ds_read_b128 v[0:3], v66 offset:4032
	ds_read_b128 v[4:7], v10 offset:10080
	s_waitcnt lgkmcnt(0)
	v_add_f64 v[8:9], v[0:1], v[4:5]
	v_add_f64 v[15:16], v[6:7], v[2:3]
	v_add_f64 v[17:18], v[0:1], -v[4:5]
	v_add_f64 v[0:1], v[2:3], -v[6:7]
	s_waitcnt vmcnt(2)
	v_fma_f64 v[2:3], v[17:18], v[25:26], v[8:9]
	v_fma_f64 v[4:5], v[15:16], v[25:26], v[0:1]
	v_fma_f64 v[6:7], -v[17:18], v[25:26], v[8:9]
	v_fma_f64 v[8:9], v[15:16], v[25:26], -v[0:1]
	v_fma_f64 v[0:1], -v[15:16], v[23:24], v[2:3]
	v_fma_f64 v[2:3], v[17:18], v[23:24], v[4:5]
	v_fma_f64 v[4:5], v[15:16], v[23:24], v[6:7]
	v_fma_f64 v[6:7], v[17:18], v[23:24], v[8:9]
	ds_write_b128 v66, v[0:3] offset:4032
	ds_write_b128 v10, v[4:7] offset:10080
	ds_read_b128 v[0:3], v66 offset:5040
	ds_read_b128 v[4:7], v10 offset:9072
	;; [unrolled: 18-line block ×3, first 2 shown]
	s_waitcnt lgkmcnt(0)
	v_add_f64 v[8:9], v[0:1], v[4:5]
	v_add_f64 v[15:16], v[6:7], v[2:3]
	v_add_f64 v[17:18], v[0:1], -v[4:5]
	v_add_f64 v[0:1], v[2:3], -v[6:7]
	s_waitcnt vmcnt(0)
	v_fma_f64 v[2:3], v[17:18], v[13:14], v[8:9]
	v_fma_f64 v[4:5], v[15:16], v[13:14], v[0:1]
	v_fma_f64 v[6:7], -v[17:18], v[13:14], v[8:9]
	v_fma_f64 v[8:9], v[15:16], v[13:14], -v[0:1]
	v_fma_f64 v[0:1], -v[15:16], v[11:12], v[2:3]
	v_fma_f64 v[2:3], v[17:18], v[11:12], v[4:5]
	v_fma_f64 v[4:5], v[15:16], v[11:12], v[6:7]
	;; [unrolled: 1-line block ×3, first 2 shown]
	ds_write_b128 v66, v[0:3] offset:6048
	ds_write_b128 v10, v[4:7] offset:8064
	s_waitcnt lgkmcnt(0)
	s_barrier
	buffer_gl0_inv
	s_barrier
	buffer_gl0_inv
	ds_read_b128 v[4:7], v66 offset:12544
	ds_read_b128 v[36:39], v66 offset:3136
	;; [unrolled: 1-line block ×16, first 2 shown]
	ds_read_b128 v[75:78], v66
	s_waitcnt lgkmcnt(14)
	v_add_f64 v[79:80], v[40:41], v[4:5]
	s_waitcnt lgkmcnt(13)
	v_add_f64 v[81:82], v[36:37], v[44:45]
	v_add_f64 v[83:84], v[38:39], v[46:47]
	;; [unrolled: 1-line block ×3, first 2 shown]
	v_add_f64 v[42:43], v[42:43], -v[6:7]
	v_add_f64 v[40:41], v[40:41], -v[4:5]
	ds_read_b128 v[4:7], v66 offset:1008
	s_waitcnt lgkmcnt(8)
	v_add_f64 v[87:88], v[52:53], v[48:49]
	v_add_f64 v[89:90], v[54:55], v[50:51]
	s_waitcnt lgkmcnt(6)
	v_add_f64 v[95:96], v[69:70], -v[73:74]
	v_add_f64 v[97:98], v[67:68], v[71:72]
	v_add_f64 v[103:104], v[67:68], -v[71:72]
	v_add_f64 v[38:39], v[38:39], -v[46:47]
	;; [unrolled: 1-line block ×3, first 2 shown]
	v_add_f64 v[44:45], v[69:70], v[73:74]
	v_add_f64 v[50:51], v[54:55], -v[50:51]
	v_add_f64 v[48:49], v[52:53], -v[48:49]
	s_waitcnt lgkmcnt(0)
	s_barrier
	buffer_gl0_inv
	v_fma_f64 v[52:53], v[79:80], s[24:25], v[75:76]
	v_add_f64 v[91:92], v[81:82], v[79:80]
	v_fma_f64 v[109:110], v[81:82], s[24:25], v[75:76]
	v_add_f64 v[93:94], v[83:84], v[85:86]
	v_mul_f64 v[46:47], v[42:43], s[16:17]
	v_mul_f64 v[111:112], v[40:41], s[16:17]
	v_mul_f64 v[105:106], v[95:96], s[14:15]
	v_mul_f64 v[107:108], v[95:96], s[8:9]
	v_fma_f64 v[54:55], v[97:98], s[24:25], v[75:76]
	v_fma_f64 v[52:53], v[81:82], s[20:21], v[52:53]
	v_add_f64 v[99:100], v[87:88], v[91:92]
	v_fma_f64 v[109:110], v[97:98], s[20:21], v[109:110]
	v_add_f64 v[101:102], v[89:90], v[93:94]
	v_fma_f64 v[46:47], v[38:39], s[8:9], v[46:47]
	v_fma_f64 v[111:112], v[36:37], s[8:9], v[111:112]
	v_add_f64 v[91:92], v[97:98], v[91:92]
	v_add_f64 v[93:94], v[44:45], v[93:94]
	v_fma_f64 v[105:106], v[42:43], s[8:9], v[105:106]
	v_fma_f64 v[107:108], v[38:39], s[14:15], -v[107:108]
	v_fma_f64 v[54:55], v[79:80], s[20:21], v[54:55]
	v_fma_f64 v[52:53], v[87:88], -0.5, v[52:53]
	v_add_f64 v[67:68], v[67:68], v[99:100]
	v_mul_f64 v[99:100], v[103:104], s[8:9]
	v_add_f64 v[69:70], v[69:70], v[101:102]
	v_mul_f64 v[101:102], v[103:104], s[14:15]
	v_fma_f64 v[46:47], v[50:51], s[4:5], v[46:47]
	v_fma_f64 v[111:112], v[48:49], s[4:5], v[111:112]
	;; [unrolled: 1-line block ×4, first 2 shown]
	v_add_f64 v[107:108], v[75:76], v[87:88]
	v_fma_f64 v[54:55], v[87:88], -0.5, v[54:55]
	v_fma_f64 v[87:88], v[87:88], -0.5, v[109:110]
	v_fma_f64 v[109:110], v[44:45], s[24:25], v[77:78]
	v_add_f64 v[71:72], v[71:72], v[67:68]
	v_fma_f64 v[99:100], v[36:37], s[14:15], -v[99:100]
	v_add_f64 v[69:70], v[73:74], v[69:70]
	v_fma_f64 v[101:102], v[40:41], s[8:9], v[101:102]
	v_fma_f64 v[111:112], v[103:104], s[18:19], v[111:112]
	v_add_f64 v[103:104], v[103:104], v[40:41]
	v_fma_f64 v[91:92], v[91:92], -0.5, v[107:108]
	v_fma_f64 v[107:108], v[85:86], s[24:25], v[77:78]
	v_fma_f64 v[109:110], v[85:86], s[20:21], v[109:110]
	v_add_f64 v[71:72], v[75:76], v[71:72]
	v_fma_f64 v[99:100], v[48:49], s[4:5], v[99:100]
	v_add_f64 v[73:74], v[77:78], v[69:70]
	v_fma_f64 v[48:49], v[48:49], s[6:7], v[101:102]
	v_fma_f64 v[101:102], v[83:84], s[24:25], v[77:78]
	v_add_f64 v[103:104], v[103:104], -v[36:37]
	v_fma_f64 v[107:108], v[83:84], s[20:21], v[107:108]
	v_fma_f64 v[109:110], v[89:90], -0.5, v[109:110]
	v_fma_f64 v[101:102], v[44:45], s[20:21], v[101:102]
	v_fma_f64 v[107:108], v[89:90], -0.5, v[107:108]
	v_fma_f64 v[101:102], v[89:90], -0.5, v[101:102]
	v_add_f64 v[89:90], v[77:78], v[89:90]
	v_fma_f64 v[89:90], v[93:94], -0.5, v[89:90]
	v_add_f64 v[93:94], v[95:96], v[42:43]
	v_fma_f64 v[95:96], v[95:96], s[18:19], v[46:47]
	v_fma_f64 v[46:47], v[97:98], s[22:23], v[52:53]
	;; [unrolled: 1-line block ×11, first 2 shown]
	v_mul_f64 v[99:100], v[103:104], s[4:5]
	v_lshlrev_b32_e32 v36, 7, v58
	v_add_nc_u32_e32 v36, v66, v36
	v_add_f64 v[93:94], v[93:94], -v[38:39]
	v_fma_f64 v[39:40], v[103:104], s[6:7], v[89:90]
	v_add_f64 v[41:42], v[95:96], v[46:47]
	v_add_f64 v[45:46], v[52:53], v[81:82]
	;; [unrolled: 1-line block ×3, first 2 shown]
	v_add_f64 v[51:52], v[79:80], -v[97:98]
	v_add_f64 v[47:48], v[54:55], -v[87:88]
	;; [unrolled: 1-line block ×3, first 2 shown]
	v_mul_f64 v[85:86], v[93:94], s[4:5]
	v_fma_f64 v[37:38], v[93:94], s[4:5], v[91:92]
	v_fma_f64 v[69:70], v[99:100], 2.0, v[39:40]
	v_fma_f64 v[75:76], v[95:96], -2.0, v[41:42]
	v_fma_f64 v[79:80], v[81:82], -2.0, v[45:46]
	;; [unrolled: 1-line block ×3, first 2 shown]
	v_fma_f64 v[81:82], v[87:88], 2.0, v[47:48]
	v_fma_f64 v[77:78], v[111:112], 2.0, v[43:44]
	v_fma_f64 v[67:68], v[85:86], -2.0, v[37:38]
	v_fma_f64 v[85:86], v[97:98], 2.0, v[51:52]
	ds_write_b128 v36, v[37:40] offset:48
	ds_write_b128 v36, v[71:74]
	ds_write_b128 v36, v[41:44] offset:16
	ds_write_b128 v36, v[45:48] offset:32
	;; [unrolled: 1-line block ×7, first 2 shown]
	v_cmpx_gt_u32_e32 35, v58
	s_cbranch_execz .LBB0_21
; %bb.20:
	v_add_f64 v[37:38], v[8:9], -v[0:1]
	v_add_f64 v[39:40], v[22:23], v[30:31]
	v_add_f64 v[41:42], v[10:11], -v[2:3]
	v_add_f64 v[43:44], v[20:21], v[28:29]
	v_add_f64 v[45:46], v[10:11], v[2:3]
	;; [unrolled: 1-line block ×3, first 2 shown]
	v_add_f64 v[49:50], v[24:25], -v[32:33]
	v_add_f64 v[51:52], v[26:27], v[34:35]
	v_add_f64 v[26:27], v[26:27], -v[34:35]
	v_add_f64 v[24:25], v[24:25], v[32:33]
	v_add_f64 v[20:21], v[20:21], -v[28:29]
	v_add_f64 v[22:23], v[22:23], -v[30:31]
	v_add_f64 v[81:82], v[14:15], v[18:19]
	v_add_f64 v[83:84], v[12:13], v[16:17]
	v_add_f64 v[12:13], v[12:13], -v[16:17]
	v_add_f64 v[14:15], v[14:15], -v[18:19]
	v_mul_f64 v[28:29], v[37:38], s[8:9]
	v_fma_f64 v[30:31], v[39:40], s[24:25], v[6:7]
	v_mul_f64 v[32:33], v[41:42], s[8:9]
	v_fma_f64 v[34:35], v[43:44], s[24:25], v[4:5]
	;; [unrolled: 2-line block ×6, first 2 shown]
	v_add_f64 v[85:86], v[39:40], v[51:52]
	v_add_f64 v[87:88], v[43:44], v[24:25]
	;; [unrolled: 1-line block ×4, first 2 shown]
	v_fma_f64 v[16:17], v[20:21], s[14:15], -v[28:29]
	v_fma_f64 v[18:19], v[45:46], s[20:21], v[30:31]
	v_fma_f64 v[28:29], v[22:23], s[14:15], -v[32:33]
	v_fma_f64 v[30:31], v[47:48], s[20:21], v[34:35]
	v_fma_f64 v[32:33], v[49:50], s[8:9], v[53:54]
	;; [unrolled: 1-line block ×9, first 2 shown]
	v_add_f64 v[93:94], v[81:82], v[85:86]
	v_add_f64 v[95:96], v[83:84], v[87:88]
	;; [unrolled: 1-line block ×6, first 2 shown]
	v_fma_f64 v[16:17], v[12:13], s[4:5], v[16:17]
	v_fma_f64 v[18:19], v[81:82], -0.5, v[18:19]
	v_fma_f64 v[28:29], v[14:15], s[4:5], v[28:29]
	v_fma_f64 v[30:31], v[83:84], -0.5, v[30:31]
	;; [unrolled: 2-line block ×6, first 2 shown]
	v_add_f64 v[10:11], v[10:11], v[93:94]
	v_add_f64 v[8:9], v[8:9], v[95:96]
	v_add_f64 v[73:74], v[77:78], -v[20:21]
	v_add_f64 v[75:76], v[89:90], -v[22:23]
	v_fma_f64 v[77:78], v[85:86], -0.5, v[79:80]
	v_fma_f64 v[79:80], v[87:88], -0.5, v[91:92]
	v_fma_f64 v[49:50], v[49:50], s[18:19], v[16:17]
	v_fma_f64 v[16:17], v[51:52], s[22:23], v[18:19]
	;; [unrolled: 1-line block ×12, first 2 shown]
	v_add_f64 v[43:44], v[2:3], v[10:11]
	v_add_f64 v[45:46], v[0:1], v[8:9]
	v_mul_f64 v[39:40], v[73:74], s[4:5]
	v_mul_f64 v[41:42], v[75:76], s[4:5]
	v_fma_f64 v[2:3], v[73:74], s[6:7], v[77:78]
	v_fma_f64 v[0:1], v[75:76], s[4:5], v[79:80]
	v_add_f64 v[10:11], v[16:17], -v[49:50]
	v_add_f64 v[8:9], v[28:29], v[18:19]
	v_add_f64 v[14:15], v[20:21], -v[30:31]
	v_add_f64 v[12:13], v[22:23], v[32:33]
	;; [unrolled: 2-line block ×3, first 2 shown]
	v_add_f64 v[6:7], v[6:7], v[43:44]
	v_add_f64 v[4:5], v[4:5], v[45:46]
	v_fma_f64 v[22:23], v[39:40], 2.0, v[2:3]
	v_fma_f64 v[20:21], v[41:42], -2.0, v[0:1]
	v_fma_f64 v[26:27], v[49:50], 2.0, v[10:11]
	v_fma_f64 v[24:25], v[28:29], -2.0, v[8:9]
	v_fma_f64 v[30:31], v[30:31], 2.0, v[14:15]
	v_fma_f64 v[28:29], v[32:33], -2.0, v[12:13]
	v_fma_f64 v[34:35], v[34:35], 2.0, v[18:19]
	v_fma_f64 v[32:33], v[37:38], -2.0, v[16:17]
	ds_write_b128 v36, v[0:3] offset:9120
	ds_write_b128 v36, v[4:7] offset:9072
	;; [unrolled: 1-line block ×9, first 2 shown]
.LBB0_21:
	s_or_b32 exec_lo, exec_lo, s1
	v_and_b32_e32 v0, 0xff, v58
	v_mov_b32_e32 v1, 6
	s_waitcnt lgkmcnt(0)
	s_barrier
	buffer_gl0_inv
	v_mul_lo_u16 v0, v0, 57
	v_add_nc_u16 v2, v58, 63
	s_mov_b32 s8, 0x37e14327
	s_mov_b32 s4, 0x36b3c0b5
	s_mov_b32 s16, 0xe976ee23
	v_lshrrev_b16 v59, 9, v0
	v_and_b32_e32 v3, 0xff, v2
	s_mov_b32 s9, 0x3fe948f6
	s_mov_b32 s5, 0x3fac98ee
	s_mov_b32 s17, 0xbfe11646
	v_mul_lo_u16 v0, v59, 9
	v_mul_lo_u16 v3, v3, 57
	s_mov_b32 s6, 0x429ad128
	s_mov_b32 s7, 0x3febfeb5
	;; [unrolled: 1-line block ×3, first 2 shown]
	v_sub_nc_u16 v67, v58, v0
	v_lshrrev_b16 v68, 9, v3
	s_mov_b32 s20, 0x5476071b
	s_mov_b32 s22, 0xb247c609
	;; [unrolled: 1-line block ×3, first 2 shown]
	v_mul_u32_u24_sdwa v0, v67, v1 dst_sel:DWORD dst_unused:UNUSED_PAD src0_sel:BYTE_0 src1_sel:DWORD
	v_mul_lo_u16 v3, v68, 9
	s_mov_b32 s21, 0x3fe77f67
	s_mov_b32 s19, 0xbfe77f67
	;; [unrolled: 1-line block ×3, first 2 shown]
	v_lshlrev_b32_e32 v0, 4, v0
	v_sub_nc_u16 v69, v2, v3
	s_mov_b32 s18, s20
	s_mov_b32 s27, 0xbfd5d0dc
	;; [unrolled: 1-line block ×3, first 2 shown]
	s_clause 0x4
	global_load_dwordx4 v[70:73], v0, s[12:13]
	global_load_dwordx4 v[74:77], v0, s[12:13] offset:16
	global_load_dwordx4 v[78:81], v0, s[12:13] offset:32
	;; [unrolled: 1-line block ×4, first 2 shown]
	v_mul_u32_u24_sdwa v1, v69, v1 dst_sel:DWORD dst_unused:UNUSED_PAD src0_sel:BYTE_0 src1_sel:DWORD
	s_mov_b32 s24, 0x37c3f68c
	s_mov_b32 s25, 0x3fdc38aa
	v_lshlrev_b32_e32 v1, 4, v1
	s_clause 0x6
	global_load_dwordx4 v[90:93], v0, s[12:13] offset:48
	global_load_dwordx4 v[4:7], v1, s[12:13]
	global_load_dwordx4 v[16:19], v1, s[12:13] offset:80
	global_load_dwordx4 v[12:15], v1, s[12:13] offset:16
	;; [unrolled: 1-line block ×5, first 2 shown]
	ds_read_b128 v[94:97], v66 offset:2016
	ds_read_b128 v[98:101], v66 offset:4032
	;; [unrolled: 1-line block ×12, first 2 shown]
	ds_read_b128 v[8:11], v66
	ds_read_b128 v[0:3], v66 offset:1008
	s_waitcnt vmcnt(0) lgkmcnt(0)
	s_barrier
	buffer_gl0_inv
	v_mul_f64 v[118:119], v[96:97], v[72:73]
	v_mul_f64 v[72:73], v[94:95], v[72:73]
	v_mul_f64 v[120:121], v[100:101], v[76:77]
	v_mul_f64 v[76:77], v[98:99], v[76:77]
	v_fma_f64 v[94:95], v[94:95], v[70:71], -v[118:119]
	v_fma_f64 v[70:71], v[96:97], v[70:71], v[72:73]
	v_mul_f64 v[72:73], v[104:105], v[80:81]
	v_mul_f64 v[80:81], v[102:103], v[80:81]
	v_mul_f64 v[96:97], v[108:109], v[84:85]
	v_mul_f64 v[84:85], v[106:107], v[84:85]
	v_fma_f64 v[98:99], v[98:99], v[74:75], -v[120:121]
	v_fma_f64 v[74:75], v[100:101], v[74:75], v[76:77]
	;; [unrolled: 6-line block ×6, first 2 shown]
	v_mov_b32_e32 v108, 0x3f0
	v_mov_b32_e32 v109, 4
	v_mul_u32_u24_e32 v110, 6, v58
	v_fma_f64 v[32:33], v[32:33], v[4:5], -v[80:81]
	v_fma_f64 v[4:5], v[34:35], v[4:5], v[6:7]
	v_fma_f64 v[6:7], v[52:53], v[16:17], -v[102:103]
	v_fma_f64 v[16:17], v[54:55], v[16:17], v[18:19]
	v_mul_u32_u24_sdwa v59, v59, v108 dst_sel:DWORD dst_unused:UNUSED_PAD src0_sel:WORD_0 src1_sel:DWORD
	v_lshlrev_b32_sdwa v67, v109, v67 dst_sel:DWORD dst_unused:UNUSED_PAD src0_sel:DWORD src1_sel:BYTE_0
	v_fma_f64 v[18:19], v[36:37], v[12:13], -v[84:85]
	v_fma_f64 v[12:13], v[38:39], v[12:13], v[14:15]
	v_fma_f64 v[14:15], v[48:49], v[28:29], -v[104:105]
	v_fma_f64 v[28:29], v[50:51], v[28:29], v[30:31]
	v_add_f64 v[36:37], v[98:99], v[96:97]
	v_add_f64 v[34:35], v[70:71], v[86:87]
	v_fma_f64 v[30:31], v[40:41], v[24:25], -v[88:89]
	v_fma_f64 v[24:25], v[42:43], v[24:25], v[26:27]
	v_fma_f64 v[26:27], v[44:45], v[20:21], -v[106:107]
	v_fma_f64 v[20:21], v[46:47], v[20:21], v[22:23]
	v_add_f64 v[22:23], v[94:95], v[76:77]
	v_add_f64 v[38:39], v[74:75], v[82:83]
	v_add_f64 v[42:43], v[70:71], -v[86:87]
	v_add_f64 v[44:45], v[72:73], v[100:101]
	v_add_f64 v[52:53], v[100:101], -v[72:73]
	;; [unrolled: 2-line block ×3, first 2 shown]
	v_add_f64 v[50:51], v[74:75], -v[82:83]
	v_add_f64 v[70:71], v[32:33], v[6:7]
	v_add_f64 v[72:73], v[4:5], v[16:17]
	v_add_f64 v[6:7], v[32:33], -v[6:7]
	v_add_f64 v[4:5], v[4:5], -v[16:17]
	;; [unrolled: 1-line block ×4, first 2 shown]
	v_add_f64 v[16:17], v[18:19], v[14:15]
	v_add_f64 v[32:33], v[12:13], v[28:29]
	v_add_f64 v[14:15], v[18:19], -v[14:15]
	v_add_f64 v[12:13], v[12:13], -v[28:29]
	v_mul_u32_u24_sdwa v68, v68, v108 dst_sel:DWORD dst_unused:UNUSED_PAD src0_sel:WORD_0 src1_sel:DWORD
	v_lshlrev_b32_sdwa v69, v109, v69 dst_sel:DWORD dst_unused:UNUSED_PAD src0_sel:DWORD src1_sel:BYTE_0
	v_add_f64 v[18:19], v[30:31], v[26:27]
	v_add_f64 v[28:29], v[24:25], v[20:21]
	v_add_f64 v[26:27], v[26:27], -v[30:31]
	v_add_f64 v[20:21], v[20:21], -v[24:25]
	v_add_f64 v[24:25], v[36:37], v[22:23]
	v_add_f64 v[30:31], v[38:39], v[34:35]
	v_add_f64 v[74:75], v[36:37], -v[22:23]
	v_add_f64 v[76:77], v[38:39], -v[34:35]
	;; [unrolled: 1-line block ×6, first 2 shown]
	v_add_f64 v[78:79], v[52:53], v[48:49]
	v_add_f64 v[82:83], v[52:53], -v[48:49]
	v_add_f64 v[80:81], v[54:55], v[50:51]
	v_add_f64 v[84:85], v[54:55], -v[50:51]
	v_add_f64 v[86:87], v[16:17], v[70:71]
	v_add_f64 v[88:89], v[32:33], v[72:73]
	v_add_f64 v[48:49], v[48:49], -v[40:41]
	v_add_f64 v[50:51], v[50:51], -v[42:43]
	v_add_f64 v[90:91], v[16:17], -v[70:71]
	v_add_f64 v[92:93], v[32:33], -v[72:73]
	v_add_f64 v[70:71], v[70:71], -v[18:19]
	v_add_f64 v[72:73], v[72:73], -v[28:29]
	v_add_f64 v[94:95], v[26:27], v[14:15]
	v_add_f64 v[96:97], v[20:21], v[12:13]
	;; [unrolled: 1-line block ×4, first 2 shown]
	v_add_f64 v[16:17], v[18:19], -v[16:17]
	v_add_f64 v[32:33], v[28:29], -v[32:33]
	;; [unrolled: 1-line block ×10, first 2 shown]
	v_add_f64 v[18:19], v[18:19], v[86:87]
	v_add_f64 v[28:29], v[28:29], v[88:89]
	;; [unrolled: 1-line block ×4, first 2 shown]
	v_mul_f64 v[22:23], v[22:23], s[8:9]
	v_mul_f64 v[34:35], v[34:35], s[8:9]
	;; [unrolled: 1-line block ×6, first 2 shown]
	v_add_f64 v[86:87], v[94:95], v[6:7]
	v_add_f64 v[88:89], v[96:97], v[4:5]
	;; [unrolled: 1-line block ×4, first 2 shown]
	v_mul_f64 v[82:83], v[48:49], s[6:7]
	v_mul_f64 v[84:85], v[50:51], s[6:7]
	;; [unrolled: 1-line block ×8, first 2 shown]
	v_add_f64 v[0:1], v[0:1], v[18:19]
	v_add_f64 v[2:3], v[2:3], v[28:29]
	v_mul_f64 v[8:9], v[16:17], s[4:5]
	v_mul_f64 v[10:11], v[32:33], s[4:5]
	v_fma_f64 v[36:37], v[36:37], s[4:5], v[22:23]
	v_fma_f64 v[38:39], v[38:39], s[4:5], v[34:35]
	v_fma_f64 v[44:45], v[74:75], s[20:21], -v[44:45]
	v_fma_f64 v[46:47], v[76:77], s[20:21], -v[46:47]
	;; [unrolled: 1-line block ×4, first 2 shown]
	v_fma_f64 v[74:75], v[52:53], s[22:23], v[78:79]
	v_fma_f64 v[76:77], v[54:55], s[22:23], v[80:81]
	;; [unrolled: 1-line block ×4, first 2 shown]
	v_fma_f64 v[48:49], v[48:49], s[6:7], -v[78:79]
	v_fma_f64 v[50:51], v[50:51], s[6:7], -v[80:81]
	;; [unrolled: 1-line block ×4, first 2 shown]
	v_fma_f64 v[16:17], v[16:17], s[4:5], v[70:71]
	v_fma_f64 v[32:33], v[32:33], s[4:5], v[72:73]
	;; [unrolled: 1-line block ×4, first 2 shown]
	v_fma_f64 v[14:15], v[14:15], s[6:7], -v[94:95]
	v_fma_f64 v[26:27], v[26:27], s[26:27], -v[98:99]
	v_fma_f64 v[18:19], v[18:19], s[14:15], v[0:1]
	v_fma_f64 v[28:29], v[28:29], s[14:15], v[2:3]
	v_fma_f64 v[20:21], v[20:21], s[26:27], -v[100:101]
	v_fma_f64 v[70:71], v[90:91], s[18:19], -v[70:71]
	;; [unrolled: 1-line block ×6, first 2 shown]
	v_fma_f64 v[74:75], v[40:41], s[24:25], v[74:75]
	v_fma_f64 v[76:77], v[42:43], s[24:25], v[76:77]
	v_add_f64 v[36:37], v[36:37], v[24:25]
	v_add_f64 v[38:39], v[38:39], v[30:31]
	v_fma_f64 v[48:49], v[40:41], s[24:25], v[48:49]
	v_fma_f64 v[50:51], v[42:43], s[24:25], v[50:51]
	;; [unrolled: 1-line block ×4, first 2 shown]
	v_add_f64 v[52:53], v[22:23], v[24:25]
	v_add_f64 v[34:35], v[34:35], v[30:31]
	;; [unrolled: 1-line block ×4, first 2 shown]
	v_fma_f64 v[54:55], v[86:87], s[24:25], v[78:79]
	v_fma_f64 v[78:79], v[88:89], s[24:25], v[80:81]
	;; [unrolled: 1-line block ×4, first 2 shown]
	v_add_f64 v[84:85], v[16:17], v[18:19]
	v_add_f64 v[86:87], v[32:33], v[28:29]
	v_fma_f64 v[82:83], v[88:89], s[24:25], v[20:21]
	v_add_f64 v[70:71], v[70:71], v[18:19]
	v_add_f64 v[72:73], v[72:73], v[28:29]
	v_fma_f64 v[44:45], v[88:89], s[24:25], v[12:13]
	v_add_f64 v[88:89], v[8:9], v[18:19]
	v_add_f64 v[90:91], v[10:11], v[28:29]
	;; [unrolled: 1-line block ×3, first 2 shown]
	v_add_f64 v[10:11], v[38:39], -v[74:75]
	v_add_f64 v[28:29], v[36:37], -v[76:77]
	v_add_f64 v[30:31], v[74:75], v[38:39]
	v_add3_u32 v59, 0, v59, v67
	v_add3_u32 v67, 0, v68, v69
	v_add_f64 v[12:13], v[42:43], v[52:53]
	v_add_f64 v[14:15], v[34:35], -v[40:41]
	v_add_f64 v[16:17], v[22:23], -v[50:51]
	v_add_f64 v[18:19], v[48:49], v[24:25]
	v_add_f64 v[20:21], v[50:51], v[22:23]
	v_add_f64 v[22:23], v[24:25], -v[48:49]
	v_add_f64 v[24:25], v[52:53], -v[42:43]
	v_add_f64 v[26:27], v[40:41], v[34:35]
	;; [unrolled: 4-line block ×3, first 2 shown]
	v_add_f64 v[38:39], v[72:73], -v[80:81]
	v_add_f64 v[48:49], v[70:71], -v[82:83]
	v_add_f64 v[40:41], v[88:89], -v[44:45]
	v_add_f64 v[42:43], v[46:47], v[90:91]
	v_add_f64 v[44:45], v[44:45], v[88:89]
	v_add_f64 v[46:47], v[90:91], -v[46:47]
	v_add_f64 v[50:51], v[80:81], v[72:73]
	v_add_f64 v[54:55], v[54:55], v[86:87]
	v_lshlrev_b32_e32 v70, 4, v110
	ds_write_b128 v59, v[4:7]
	ds_write_b128 v59, v[8:11] offset:144
	ds_write_b128 v59, v[12:15] offset:288
	;; [unrolled: 1-line block ×6, first 2 shown]
	ds_write_b128 v67, v[0:3]
	ds_write_b128 v67, v[32:35] offset:144
	ds_write_b128 v67, v[36:39] offset:288
	;; [unrolled: 1-line block ×6, first 2 shown]
	s_waitcnt lgkmcnt(0)
	s_barrier
	buffer_gl0_inv
	s_clause 0x5
	global_load_dwordx4 v[8:11], v70, s[12:13] offset:864
	global_load_dwordx4 v[4:7], v70, s[12:13] offset:880
	;; [unrolled: 1-line block ×6, first 2 shown]
	v_add_co_u32 v54, s0, s12, v62
	v_add_co_ci_u32_e64 v55, s0, s13, v63, s0
	ds_read_b128 v[26:29], v66 offset:2016
	ds_read_b128 v[30:33], v66 offset:4032
	;; [unrolled: 1-line block ×4, first 2 shown]
	v_add_co_u32 v24, s0, s12, v64
	v_add_co_ci_u32_e64 v25, s0, s13, v65, s0
	ds_read_b128 v[42:45], v66 offset:10080
	ds_read_b128 v[46:49], v66 offset:8064
	ds_read_b128 v[50:53], v66 offset:3024
	ds_read_b128 v[62:65], v66 offset:5040
	ds_read_b128 v[67:70], v66 offset:7056
	ds_read_b128 v[71:74], v66 offset:11088
	ds_read_b128 v[75:78], v66 offset:13104
	ds_read_b128 v[79:82], v66 offset:9072
	v_add_co_u32 v54, s0, 0x1800, v54
	v_add_co_ci_u32_e64 v55, s0, 0, v55, s0
	s_waitcnt vmcnt(5) lgkmcnt(11)
	v_mul_f64 v[83:84], v[28:29], v[10:11]
	v_mul_f64 v[85:86], v[26:27], v[10:11]
	s_waitcnt vmcnt(4) lgkmcnt(10)
	v_mul_f64 v[87:88], v[32:33], v[6:7]
	v_mul_f64 v[89:90], v[30:31], v[6:7]
	;; [unrolled: 3-line block ×4, first 2 shown]
	v_mul_f64 v[91:92], v[36:37], v[2:3]
	v_mul_f64 v[93:94], v[34:35], v[2:3]
	s_waitcnt vmcnt(0) lgkmcnt(6)
	v_mul_f64 v[103:104], v[48:49], v[14:15]
	v_mul_f64 v[105:106], v[46:47], v[14:15]
	s_waitcnt lgkmcnt(5)
	v_mul_f64 v[107:108], v[52:53], v[10:11]
	v_mul_f64 v[10:11], v[50:51], v[10:11]
	s_waitcnt lgkmcnt(4)
	;; [unrolled: 3-line block ×3, first 2 shown]
	v_mul_f64 v[113:114], v[77:78], v[22:23]
	v_mul_f64 v[22:23], v[75:76], v[22:23]
	;; [unrolled: 1-line block ×6, first 2 shown]
	v_fma_f64 v[83:84], v[26:27], v[8:9], -v[83:84]
	v_fma_f64 v[85:86], v[28:29], v[8:9], v[85:86]
	s_waitcnt lgkmcnt(0)
	v_mul_f64 v[117:118], v[81:82], v[14:15]
	v_mul_f64 v[14:15], v[79:80], v[14:15]
	v_fma_f64 v[87:88], v[30:31], v[4:5], -v[87:88]
	v_fma_f64 v[89:90], v[32:33], v[4:5], v[89:90]
	v_fma_f64 v[38:39], v[38:39], v[20:21], -v[95:96]
	v_fma_f64 v[40:41], v[40:41], v[20:21], v[97:98]
	;; [unrolled: 2-line block ×11, first 2 shown]
	ds_read_b128 v[26:29], v66
	ds_read_b128 v[30:33], v66 offset:1008
	s_waitcnt lgkmcnt(0)
	v_add_f64 v[14:15], v[83:84], v[38:39]
	v_add_f64 v[52:53], v[85:86], v[40:41]
	;; [unrolled: 1-line block ×4, first 2 shown]
	v_add_f64 v[38:39], v[83:84], -v[38:39]
	v_add_f64 v[40:41], v[85:86], -v[40:41]
	v_add_f64 v[67:68], v[34:35], v[46:47]
	v_add_f64 v[69:70], v[36:37], v[48:49]
	v_add_f64 v[34:35], v[46:47], -v[34:35]
	v_add_f64 v[36:37], v[48:49], -v[36:37]
	v_add_f64 v[46:47], v[50:51], v[10:11]
	v_add_f64 v[48:49], v[8:9], v[20:21]
	;; [unrolled: 4-line block ×3, first 2 shown]
	v_add_f64 v[42:43], v[87:88], -v[42:43]
	v_add_f64 v[44:45], v[89:90], -v[44:45]
	;; [unrolled: 1-line block ×4, first 2 shown]
	v_add_f64 v[16:17], v[18:19], v[2:3]
	v_add_f64 v[22:23], v[0:1], v[12:13]
	v_add_f64 v[2:3], v[2:3], -v[18:19]
	v_add_f64 v[0:1], v[12:13], -v[0:1]
	v_add_f64 v[12:13], v[62:63], v[14:15]
	v_add_f64 v[18:19], v[64:65], v[52:53]
	v_add_f64 v[71:72], v[62:63], -v[14:15]
	v_add_f64 v[73:74], v[64:65], -v[52:53]
	;; [unrolled: 1-line block ×6, first 2 shown]
	s_barrier
	buffer_gl0_inv
	v_add_f64 v[83:84], v[20:21], v[46:47]
	v_add_f64 v[85:86], v[50:51], v[48:49]
	;; [unrolled: 1-line block ×4, first 2 shown]
	v_add_f64 v[79:80], v[34:35], -v[42:43]
	v_add_f64 v[81:82], v[36:37], -v[44:45]
	;; [unrolled: 1-line block ×6, first 2 shown]
	v_add_f64 v[12:13], v[67:68], v[12:13]
	v_add_f64 v[18:19], v[69:70], v[18:19]
	v_add_f64 v[46:47], v[46:47], -v[16:17]
	v_add_f64 v[48:49], v[48:49], -v[22:23]
	;; [unrolled: 1-line block ×4, first 2 shown]
	v_add_f64 v[91:92], v[2:3], v[6:7]
	v_add_f64 v[93:94], v[0:1], v[4:5]
	v_add_f64 v[95:96], v[2:3], -v[6:7]
	v_add_f64 v[97:98], v[0:1], -v[4:5]
	;; [unrolled: 1-line block ×4, first 2 shown]
	v_mul_f64 v[4:5], v[62:63], s[4:5]
	v_mul_f64 v[6:7], v[64:65], s[4:5]
	v_add_f64 v[16:17], v[16:17], v[83:84]
	v_add_f64 v[22:23], v[22:23], v[85:86]
	v_add_f64 v[34:35], v[38:39], -v[34:35]
	v_add_f64 v[36:37], v[40:41], -v[36:37]
	;; [unrolled: 1-line block ×4, first 2 shown]
	v_add_f64 v[38:39], v[75:76], v[38:39]
	v_add_f64 v[40:41], v[77:78], v[40:41]
	v_mul_f64 v[14:15], v[14:15], s[8:9]
	v_mul_f64 v[52:53], v[52:53], s[8:9]
	;; [unrolled: 1-line block ×6, first 2 shown]
	v_add_f64 v[0:1], v[26:27], v[12:13]
	v_add_f64 v[2:3], v[28:29], v[18:19]
	v_mul_f64 v[46:47], v[46:47], s[8:9]
	v_mul_f64 v[48:49], v[48:49], s[8:9]
	;; [unrolled: 1-line block ×4, first 2 shown]
	v_fma_f64 v[95:96], v[71:72], s[20:21], -v[4:5]
	v_fma_f64 v[97:98], v[73:74], s[20:21], -v[6:7]
	v_add_f64 v[4:5], v[30:31], v[16:17]
	v_add_f64 v[6:7], v[32:33], v[22:23]
	;; [unrolled: 1-line block ×4, first 2 shown]
	v_mul_f64 v[91:92], v[99:100], s[6:7]
	v_mul_f64 v[93:94], v[101:102], s[6:7]
	;; [unrolled: 1-line block ×4, first 2 shown]
	v_fma_f64 v[62:63], v[62:63], s[4:5], v[14:15]
	v_fma_f64 v[64:65], v[64:65], s[4:5], v[52:53]
	v_fma_f64 v[30:31], v[73:74], s[18:19], -v[52:53]
	v_fma_f64 v[32:33], v[34:35], s[22:23], v[75:76]
	v_fma_f64 v[52:53], v[36:37], s[22:23], v[77:78]
	v_fma_f64 v[42:43], v[42:43], s[6:7], -v[75:76]
	v_fma_f64 v[44:45], v[44:45], s[6:7], -v[77:78]
	v_fma_f64 v[34:35], v[34:35], s[26:27], -v[79:80]
	v_fma_f64 v[36:37], v[36:37], s[26:27], -v[81:82]
	v_fma_f64 v[12:13], v[12:13], s[14:15], v[0:1]
	v_fma_f64 v[18:19], v[18:19], s[14:15], v[2:3]
	v_fma_f64 v[14:15], v[71:72], s[18:19], -v[14:15]
	v_fma_f64 v[20:21], v[20:21], s[4:5], v[46:47]
	v_fma_f64 v[50:51], v[50:51], s[4:5], v[48:49]
	;; [unrolled: 1-line block ×6, first 2 shown]
	v_fma_f64 v[67:68], v[67:68], s[26:27], -v[91:92]
	v_fma_f64 v[69:70], v[69:70], s[26:27], -v[93:94]
	;; [unrolled: 1-line block ×8, first 2 shown]
	v_fma_f64 v[32:33], v[38:39], s[24:25], v[32:33]
	v_fma_f64 v[52:53], v[40:41], s[24:25], v[52:53]
	;; [unrolled: 1-line block ×6, first 2 shown]
	v_add_f64 v[38:39], v[62:63], v[12:13]
	v_add_f64 v[40:41], v[64:65], v[18:19]
	;; [unrolled: 1-line block ×6, first 2 shown]
	v_fma_f64 v[71:72], v[10:11], s[24:25], v[71:72]
	v_fma_f64 v[73:74], v[8:9], s[24:25], v[73:74]
	v_add_f64 v[81:82], v[20:21], v[16:17]
	v_add_f64 v[83:84], v[50:51], v[22:23]
	v_fma_f64 v[67:68], v[10:11], s[24:25], v[67:68]
	v_fma_f64 v[69:70], v[8:9], s[24:25], v[69:70]
	v_add_f64 v[50:51], v[46:47], v[16:17]
	v_add_f64 v[85:86], v[48:49], v[22:23]
	;; [unrolled: 4-line block ×3, first 2 shown]
	v_add_co_u32 v87, s0, 0x1800, v24
	v_add_co_ci_u32_e64 v88, s0, 0, v25, s0
	v_add_f64 v[8:9], v[52:53], v[38:39]
	v_add_f64 v[10:11], v[40:41], -v[32:33]
	v_add_f64 v[12:13], v[36:37], v[62:63]
	v_add_f64 v[14:15], v[30:31], -v[34:35]
	v_add_f64 v[16:17], v[64:65], -v[44:45]
	v_add_f64 v[18:19], v[42:43], v[79:80]
	v_add_f64 v[20:21], v[44:45], v[64:65]
	v_add_f64 v[22:23], v[79:80], -v[42:43]
	v_add_f64 v[26:27], v[62:63], -v[36:37]
	v_add_f64 v[28:29], v[34:35], v[30:31]
	v_add_f64 v[30:31], v[38:39], -v[52:53]
	v_add_f64 v[32:33], v[32:33], v[40:41]
	v_add_f64 v[34:35], v[73:74], v[81:82]
	v_add_f64 v[36:37], v[83:84], -v[71:72]
	v_add_f64 v[38:39], v[69:70], v[50:51]
	v_add_f64 v[40:41], v[85:86], -v[67:68]
	v_add_f64 v[42:43], v[46:47], -v[77:78]
	v_add_f64 v[44:45], v[75:76], v[48:49]
	v_add_f64 v[46:47], v[77:78], v[46:47]
	v_add_f64 v[48:49], v[48:49], -v[75:76]
	v_add_f64 v[50:51], v[50:51], -v[69:70]
	v_add_f64 v[52:53], v[67:68], v[85:86]
	v_add_f64 v[62:63], v[81:82], -v[73:74]
	v_add_f64 v[64:65], v[71:72], v[83:84]
	v_add_co_u32 v67, s0, 0x2000, v24
	v_add_co_ci_u32_e64 v68, s0, 0, v25, s0
	v_add_co_u32 v69, s0, 0x2800, v24
	v_add_co_ci_u32_e64 v70, s0, 0, v25, s0
	v_add_co_u32 v24, s0, 0x3000, v24
	ds_write_b128 v66, v[0:3]
	ds_write_b128 v66, v[4:7] offset:7056
	ds_write_b128 v66, v[8:11] offset:1008
	;; [unrolled: 1-line block ×13, first 2 shown]
	s_waitcnt lgkmcnt(0)
	s_barrier
	buffer_gl0_inv
	s_clause 0x3
	global_load_dwordx4 v[0:3], v[54:55], off offset:768
	global_load_dwordx4 v[4:7], v[87:88], off offset:1776
	;; [unrolled: 1-line block ×4, first 2 shown]
	v_add_co_ci_u32_e64 v25, s0, 0, v25, s0
	s_clause 0x2
	global_load_dwordx4 v[16:19], v[69:70], off offset:704
	global_load_dwordx4 v[20:23], v[69:70], off offset:1712
	;; [unrolled: 1-line block ×3, first 2 shown]
	ds_read_b128 v[28:31], v66 offset:7056
	ds_read_b128 v[32:35], v66 offset:8064
	;; [unrolled: 1-line block ×8, first 2 shown]
	ds_read_b128 v[67:70], v66
	ds_read_b128 v[71:74], v66 offset:1008
	ds_read_b128 v[75:78], v66 offset:2016
	ds_read_b128 v[79:82], v66 offset:3024
	ds_read_b128 v[83:86], v66 offset:4032
	ds_read_b128 v[87:90], v66 offset:5040
	s_waitcnt vmcnt(0) lgkmcnt(0)
	s_barrier
	buffer_gl0_inv
	v_mul_f64 v[91:92], v[30:31], v[2:3]
	v_mul_f64 v[2:3], v[28:29], v[2:3]
	;; [unrolled: 1-line block ×14, first 2 shown]
	v_fma_f64 v[28:29], v[28:29], v[0:1], -v[91:92]
	v_fma_f64 v[2:3], v[30:31], v[0:1], v[2:3]
	v_fma_f64 v[30:31], v[32:33], v[4:5], -v[93:94]
	v_fma_f64 v[6:7], v[34:35], v[4:5], v[6:7]
	;; [unrolled: 2-line block ×7, first 2 shown]
	v_add_f64 v[0:1], v[67:68], -v[28:29]
	v_add_f64 v[2:3], v[69:70], -v[2:3]
	;; [unrolled: 1-line block ×14, first 2 shown]
	v_fma_f64 v[28:29], v[67:68], 2.0, -v[0:1]
	v_fma_f64 v[30:31], v[69:70], 2.0, -v[2:3]
	;; [unrolled: 1-line block ×14, first 2 shown]
	ds_write_b128 v66, v[0:3] offset:7056
	ds_write_b128 v66, v[4:7] offset:8064
	;; [unrolled: 1-line block ×7, first 2 shown]
	ds_write_b128 v66, v[28:31]
	ds_write_b128 v66, v[32:35] offset:1008
	ds_write_b128 v66, v[36:39] offset:2016
	;; [unrolled: 1-line block ×6, first 2 shown]
	s_waitcnt lgkmcnt(0)
	s_barrier
	buffer_gl0_inv
	s_and_saveexec_b32 s0, vcc_lo
	s_cbranch_execz .LBB0_23
; %bb.22:
	v_mul_lo_u32 v2, s3, v60
	v_mul_lo_u32 v3, s2, v61
	v_mad_u64_u32 v[0:1], null, s2, v60, 0
	v_mov_b32_e32 v59, 0
	v_lshl_add_u32 v30, v58, 4, 0
	v_lshlrev_b64 v[12:13], 4, v[56:57]
	v_add_nc_u32_e32 v14, 63, v58
	v_add_nc_u32_e32 v16, 0x7e, v58
	v_mov_b32_e32 v15, v59
	v_add3_u32 v1, v1, v3, v2
	v_lshlrev_b64 v[18:19], 4, v[58:59]
	v_mov_b32_e32 v17, v59
	v_add_nc_u32_e32 v22, 0xbd, v58
	v_mov_b32_e32 v23, v59
	v_lshlrev_b64 v[8:9], 4, v[0:1]
	ds_read_b128 v[0:3], v30
	ds_read_b128 v[4:7], v30 offset:1008
	v_lshlrev_b64 v[16:17], 4, v[16:17]
	v_add_nc_u32_e32 v28, 0x1f8, v58
	v_mov_b32_e32 v29, v59
	v_add_co_u32 v20, vcc_lo, s10, v8
	v_add_co_ci_u32_e32 v21, vcc_lo, s11, v9, vcc_lo
	ds_read_b128 v[8:11], v30 offset:2016
	v_add_co_u32 v31, vcc_lo, v20, v12
	v_add_co_ci_u32_e32 v32, vcc_lo, v21, v13, vcc_lo
	v_lshlrev_b64 v[12:13], 4, v[14:15]
	v_add_co_u32 v18, vcc_lo, v31, v18
	v_add_co_ci_u32_e32 v19, vcc_lo, v32, v19, vcc_lo
	v_add_co_u32 v20, vcc_lo, v31, v12
	v_add_co_ci_u32_e32 v21, vcc_lo, v32, v13, vcc_lo
	ds_read_b128 v[12:15], v30 offset:3024
	s_waitcnt lgkmcnt(3)
	global_store_dwordx4 v[18:19], v[0:3], off
	s_waitcnt lgkmcnt(2)
	global_store_dwordx4 v[20:21], v[4:7], off
	v_lshlrev_b64 v[0:1], 4, v[22:23]
	v_add_co_u32 v2, vcc_lo, v31, v16
	v_add_co_ci_u32_e32 v3, vcc_lo, v32, v17, vcc_lo
	v_add_nc_u32_e32 v4, 0xfc, v58
	v_add_co_u32 v0, vcc_lo, v31, v0
	v_add_co_ci_u32_e32 v1, vcc_lo, v32, v1, vcc_lo
	v_mov_b32_e32 v5, v59
	s_waitcnt lgkmcnt(1)
	global_store_dwordx4 v[2:3], v[8:11], off
	v_add_nc_u32_e32 v8, 0x13b, v58
	v_mov_b32_e32 v9, v59
	v_add_nc_u32_e32 v16, 0x17a, v58
	v_mov_b32_e32 v17, v59
	s_waitcnt lgkmcnt(0)
	global_store_dwordx4 v[0:1], v[12:15], off
	v_lshlrev_b64 v[12:13], 4, v[4:5]
	ds_read_b128 v[0:3], v30 offset:4032
	ds_read_b128 v[4:7], v30 offset:5040
	v_lshlrev_b64 v[14:15], 4, v[8:9]
	ds_read_b128 v[8:11], v30 offset:6048
	v_add_co_u32 v20, vcc_lo, v31, v12
	v_add_co_ci_u32_e32 v21, vcc_lo, v32, v13, vcc_lo
	v_lshlrev_b64 v[12:13], 4, v[16:17]
	v_add_nc_u32_e32 v16, 0x1b9, v58
	v_add_co_u32 v22, vcc_lo, v31, v14
	v_add_co_ci_u32_e32 v23, vcc_lo, v32, v15, vcc_lo
	v_lshlrev_b64 v[26:27], 4, v[16:17]
	ds_read_b128 v[16:19], v30 offset:8064
	v_add_co_u32 v24, vcc_lo, v31, v12
	v_add_co_ci_u32_e32 v25, vcc_lo, v32, v13, vcc_lo
	ds_read_b128 v[12:15], v30 offset:7056
	s_waitcnt lgkmcnt(4)
	global_store_dwordx4 v[20:21], v[0:3], off
	s_waitcnt lgkmcnt(3)
	global_store_dwordx4 v[22:23], v[4:7], off
	;; [unrolled: 2-line block ×3, first 2 shown]
	v_lshlrev_b64 v[0:1], 4, v[28:29]
	v_add_co_u32 v2, vcc_lo, v31, v26
	v_add_co_ci_u32_e32 v3, vcc_lo, v32, v27, vcc_lo
	v_add_nc_u32_e32 v4, 0x237, v58
	v_mov_b32_e32 v5, v59
	v_add_co_u32 v6, vcc_lo, v31, v0
	v_add_co_ci_u32_e32 v7, vcc_lo, v32, v1, vcc_lo
	v_add_nc_u32_e32 v8, 0x276, v58
	v_mov_b32_e32 v9, v59
	v_lshlrev_b64 v[4:5], 4, v[4:5]
	s_waitcnt lgkmcnt(1)
	global_store_dwordx4 v[6:7], v[16:19], off
	v_add_nc_u32_e32 v24, 0x2f4, v58
	v_mov_b32_e32 v25, v59
	v_lshlrev_b64 v[6:7], 4, v[8:9]
	s_waitcnt lgkmcnt(0)
	global_store_dwordx4 v[2:3], v[12:15], off
	v_add_co_u32 v20, vcc_lo, v31, v4
	v_add_nc_u32_e32 v12, 0x2b5, v58
	v_mov_b32_e32 v13, v59
	v_add_co_ci_u32_e32 v21, vcc_lo, v32, v5, vcc_lo
	v_add_co_u32 v22, vcc_lo, v31, v6
	ds_read_b128 v[0:3], v30 offset:9072
	v_add_co_ci_u32_e32 v23, vcc_lo, v32, v7, vcc_lo
	ds_read_b128 v[4:7], v30 offset:10080
	ds_read_b128 v[8:11], v30 offset:11088
	v_lshlrev_b64 v[26:27], 4, v[12:13]
	ds_read_b128 v[12:15], v30 offset:12096
	ds_read_b128 v[16:19], v30 offset:13104
	v_add_nc_u32_e32 v58, 0x333, v58
	v_lshlrev_b64 v[24:25], 4, v[24:25]
	v_add_co_u32 v26, vcc_lo, v31, v26
	v_lshlrev_b64 v[28:29], 4, v[58:59]
	v_add_co_ci_u32_e32 v27, vcc_lo, v32, v27, vcc_lo
	v_add_co_u32 v24, vcc_lo, v31, v24
	v_add_co_ci_u32_e32 v25, vcc_lo, v32, v25, vcc_lo
	v_add_co_u32 v28, vcc_lo, v31, v28
	v_add_co_ci_u32_e32 v29, vcc_lo, v32, v29, vcc_lo
	s_waitcnt lgkmcnt(4)
	global_store_dwordx4 v[20:21], v[0:3], off
	s_waitcnt lgkmcnt(3)
	global_store_dwordx4 v[22:23], v[4:7], off
	;; [unrolled: 2-line block ×5, first 2 shown]
.LBB0_23:
	s_endpgm
	.section	.rodata,"a",@progbits
	.p2align	6, 0x0
	.amdhsa_kernel fft_rtc_fwd_len882_factors_9_7_7_2_wgs_63_tpt_63_dp_op_CI_CI_unitstride_sbrr_C2R_dirReg
		.amdhsa_group_segment_fixed_size 0
		.amdhsa_private_segment_fixed_size 0
		.amdhsa_kernarg_size 104
		.amdhsa_user_sgpr_count 6
		.amdhsa_user_sgpr_private_segment_buffer 1
		.amdhsa_user_sgpr_dispatch_ptr 0
		.amdhsa_user_sgpr_queue_ptr 0
		.amdhsa_user_sgpr_kernarg_segment_ptr 1
		.amdhsa_user_sgpr_dispatch_id 0
		.amdhsa_user_sgpr_flat_scratch_init 0
		.amdhsa_user_sgpr_private_segment_size 0
		.amdhsa_wavefront_size32 1
		.amdhsa_uses_dynamic_stack 0
		.amdhsa_system_sgpr_private_segment_wavefront_offset 0
		.amdhsa_system_sgpr_workgroup_id_x 1
		.amdhsa_system_sgpr_workgroup_id_y 0
		.amdhsa_system_sgpr_workgroup_id_z 0
		.amdhsa_system_sgpr_workgroup_info 0
		.amdhsa_system_vgpr_workitem_id 0
		.amdhsa_next_free_vgpr 122
		.amdhsa_next_free_sgpr 28
		.amdhsa_reserve_vcc 1
		.amdhsa_reserve_flat_scratch 0
		.amdhsa_float_round_mode_32 0
		.amdhsa_float_round_mode_16_64 0
		.amdhsa_float_denorm_mode_32 3
		.amdhsa_float_denorm_mode_16_64 3
		.amdhsa_dx10_clamp 1
		.amdhsa_ieee_mode 1
		.amdhsa_fp16_overflow 0
		.amdhsa_workgroup_processor_mode 1
		.amdhsa_memory_ordered 1
		.amdhsa_forward_progress 0
		.amdhsa_shared_vgpr_count 0
		.amdhsa_exception_fp_ieee_invalid_op 0
		.amdhsa_exception_fp_denorm_src 0
		.amdhsa_exception_fp_ieee_div_zero 0
		.amdhsa_exception_fp_ieee_overflow 0
		.amdhsa_exception_fp_ieee_underflow 0
		.amdhsa_exception_fp_ieee_inexact 0
		.amdhsa_exception_int_div_zero 0
	.end_amdhsa_kernel
	.text
.Lfunc_end0:
	.size	fft_rtc_fwd_len882_factors_9_7_7_2_wgs_63_tpt_63_dp_op_CI_CI_unitstride_sbrr_C2R_dirReg, .Lfunc_end0-fft_rtc_fwd_len882_factors_9_7_7_2_wgs_63_tpt_63_dp_op_CI_CI_unitstride_sbrr_C2R_dirReg
                                        ; -- End function
	.section	.AMDGPU.csdata,"",@progbits
; Kernel info:
; codeLenInByte = 11304
; NumSgprs: 30
; NumVgprs: 122
; ScratchSize: 0
; MemoryBound: 0
; FloatMode: 240
; IeeeMode: 1
; LDSByteSize: 0 bytes/workgroup (compile time only)
; SGPRBlocks: 3
; VGPRBlocks: 15
; NumSGPRsForWavesPerEU: 30
; NumVGPRsForWavesPerEU: 122
; Occupancy: 8
; WaveLimiterHint : 1
; COMPUTE_PGM_RSRC2:SCRATCH_EN: 0
; COMPUTE_PGM_RSRC2:USER_SGPR: 6
; COMPUTE_PGM_RSRC2:TRAP_HANDLER: 0
; COMPUTE_PGM_RSRC2:TGID_X_EN: 1
; COMPUTE_PGM_RSRC2:TGID_Y_EN: 0
; COMPUTE_PGM_RSRC2:TGID_Z_EN: 0
; COMPUTE_PGM_RSRC2:TIDIG_COMP_CNT: 0
	.text
	.p2alignl 6, 3214868480
	.fill 48, 4, 3214868480
	.type	__hip_cuid_6cfb996828b7dd0c,@object ; @__hip_cuid_6cfb996828b7dd0c
	.section	.bss,"aw",@nobits
	.globl	__hip_cuid_6cfb996828b7dd0c
__hip_cuid_6cfb996828b7dd0c:
	.byte	0                               ; 0x0
	.size	__hip_cuid_6cfb996828b7dd0c, 1

	.ident	"AMD clang version 19.0.0git (https://github.com/RadeonOpenCompute/llvm-project roc-6.4.0 25133 c7fe45cf4b819c5991fe208aaa96edf142730f1d)"
	.section	".note.GNU-stack","",@progbits
	.addrsig
	.addrsig_sym __hip_cuid_6cfb996828b7dd0c
	.amdgpu_metadata
---
amdhsa.kernels:
  - .args:
      - .actual_access:  read_only
        .address_space:  global
        .offset:         0
        .size:           8
        .value_kind:     global_buffer
      - .offset:         8
        .size:           8
        .value_kind:     by_value
      - .actual_access:  read_only
        .address_space:  global
        .offset:         16
        .size:           8
        .value_kind:     global_buffer
      - .actual_access:  read_only
        .address_space:  global
        .offset:         24
        .size:           8
        .value_kind:     global_buffer
      - .actual_access:  read_only
        .address_space:  global
        .offset:         32
        .size:           8
        .value_kind:     global_buffer
      - .offset:         40
        .size:           8
        .value_kind:     by_value
      - .actual_access:  read_only
        .address_space:  global
        .offset:         48
        .size:           8
        .value_kind:     global_buffer
      - .actual_access:  read_only
        .address_space:  global
        .offset:         56
        .size:           8
        .value_kind:     global_buffer
      - .offset:         64
        .size:           4
        .value_kind:     by_value
      - .actual_access:  read_only
        .address_space:  global
        .offset:         72
        .size:           8
        .value_kind:     global_buffer
      - .actual_access:  read_only
        .address_space:  global
        .offset:         80
        .size:           8
        .value_kind:     global_buffer
      - .actual_access:  read_only
        .address_space:  global
        .offset:         88
        .size:           8
        .value_kind:     global_buffer
      - .actual_access:  write_only
        .address_space:  global
        .offset:         96
        .size:           8
        .value_kind:     global_buffer
    .group_segment_fixed_size: 0
    .kernarg_segment_align: 8
    .kernarg_segment_size: 104
    .language:       OpenCL C
    .language_version:
      - 2
      - 0
    .max_flat_workgroup_size: 63
    .name:           fft_rtc_fwd_len882_factors_9_7_7_2_wgs_63_tpt_63_dp_op_CI_CI_unitstride_sbrr_C2R_dirReg
    .private_segment_fixed_size: 0
    .sgpr_count:     30
    .sgpr_spill_count: 0
    .symbol:         fft_rtc_fwd_len882_factors_9_7_7_2_wgs_63_tpt_63_dp_op_CI_CI_unitstride_sbrr_C2R_dirReg.kd
    .uniform_work_group_size: 1
    .uses_dynamic_stack: false
    .vgpr_count:     122
    .vgpr_spill_count: 0
    .wavefront_size: 32
    .workgroup_processor_mode: 1
amdhsa.target:   amdgcn-amd-amdhsa--gfx1030
amdhsa.version:
  - 1
  - 2
...

	.end_amdgpu_metadata
